;; amdgpu-corpus repo=zjin-lcf/HeCBench kind=compiled arch=gfx1250 opt=O3
	.amdgcn_target "amdgcn-amd-amdhsa--gfx1250"
	.amdhsa_code_object_version 6
	.text
	.protected	_Z10ker_KeccakPKjPjS0_  ; -- Begin function _Z10ker_KeccakPKjPjS0_
	.globl	_Z10ker_KeccakPKjPjS0_
	.p2align	8
	.type	_Z10ker_KeccakPKjPjS0_,@function
_Z10ker_KeccakPKjPjS0_:                 ; @_Z10ker_KeccakPKjPjS0_
; %bb.0:
	s_bfe_u32 s2, ttmp6, 0x4000c
	s_and_b32 s3, ttmp6, 15
	s_add_co_i32 s2, s2, 1
	s_getreg_b32 s4, hwreg(HW_REG_IB_STS2, 6, 4)
	s_mul_i32 s2, ttmp9, s2
	v_dual_mov_b32 v18, 0 :: v_dual_mov_b32 v5, 0
	s_add_co_i32 s3, s3, s2
	s_cmp_eq_u32 s4, 0
	v_dual_mov_b32 v4, 0 :: v_dual_mov_b32 v3, 0
	s_cselect_b32 s8, ttmp9, s3
	s_clause 0x1
	s_load_b128 s[4:7], s[0:1], 0x0
	s_load_b64 s[2:3], s[0:1], 0x10
	v_lshl_or_b32 v1, s8, 19, v0
	v_dual_mov_b32 v2, 0 :: v_dual_mov_b32 v9, 0
	v_dual_mov_b32 v7, 0 :: v_dual_mov_b32 v6, 0
	;; [unrolled: 1-line block ×10, first 2 shown]
	v_mov_b32_e32 v21, 0
	s_mov_b32 s9, 0
.LBB0_1:                                ; =>This Loop Header: Depth=1
                                        ;     Child Loop BB0_2 Depth 2
	s_delay_alu instid0(SALU_CYCLE_1) | instskip(SKIP_2) | instid1(VALU_DEP_1)
	v_lshl_add_u32 v27, s9, 9, v1
	s_wait_xcnt 0x0
	s_mov_b64 s[0:1], 0
	v_add_nc_u32_e32 v28, 64, v27
	v_add_nc_u32_e32 v29, 0x80, v27
	;; [unrolled: 1-line block ×7, first 2 shown]
	s_wait_kmcnt 0x0
	s_clause 0x7
	global_load_b32 v35, v27, s[4:5] scale_offset
	global_load_b32 v36, v28, s[4:5] scale_offset
	global_load_b32 v37, v29, s[4:5] scale_offset
	global_load_b32 v38, v30, s[4:5] scale_offset
	global_load_b32 v39, v31, s[4:5] scale_offset
	global_load_b32 v40, v32, s[4:5] scale_offset
	global_load_b32 v41, v33, s[4:5] scale_offset
	global_load_b32 v42, v34, s[4:5] scale_offset
	s_wait_loadcnt 0x7
	v_xor_b32_e32 v18, v35, v18
	s_wait_loadcnt 0x6
	v_xor_b32_e32 v5, v36, v5
	;; [unrolled: 2-line block ×8, first 2 shown]
.LBB0_2:                                ;   Parent Loop BB0_1 Depth=1
                                        ; =>  This Inner Loop Header: Depth=2
	s_delay_alu instid0(VALU_DEP_1) | instskip(NEXT) | instid1(VALU_DEP_3)
	v_xor3_b32 v27, v9, v18, v16
	v_xor3_b32 v28, v7, v5, v14
	s_delay_alu instid0(VALU_DEP_3)
	v_xor3_b32 v29, v6, v4, v13
	v_xor3_b32 v30, v10, v3, v12
	v_xor3_b32 v31, v8, v2, v11
	v_xor3_b32 v27, v27, v22, v26
	v_xor3_b32 v28, v28, v20, v25
	v_xor3_b32 v29, v29, v19, v24
	v_xor3_b32 v30, v30, v17, v23
	v_xor3_b32 v31, v31, v15, v21
	v_alignbit_b32 v36, v27, v27, 31
	v_alignbit_b32 v32, v28, v28, 31
	;; [unrolled: 1-line block ×4, first 2 shown]
	s_add_nc_u64 s[10:11], s[2:3], s[0:1]
	v_alignbit_b32 v35, v31, v31, 31
	s_load_b32 s10, s[10:11], 0x0
	v_xor_b32_e32 v31, v31, v32
	v_xor_b32_e32 v27, v33, v27
	;; [unrolled: 1-line block ×30, first 2 shown]
	v_alignbit_b32 v31, v9, v9, 28
	v_alignbit_b32 v9, v21, v21, 18
	;; [unrolled: 1-line block ×24, first 2 shown]
	v_bitop3_b32 v37, v2, v7, v2 bitop3:0x30
	v_bitop3_b32 v5, v6, v7, v2 bitop3:0x9c
	;; [unrolled: 1-line block ×25, first 2 shown]
	s_wait_kmcnt 0x0
	v_xor3_b32 v18, v37, s10, v18
	s_add_nc_u64 s[0:1], s[0:1], 4
	s_delay_alu instid0(SALU_CYCLE_1)
	s_cmp_lg_u32 s0, 0x58
	s_cbranch_scc1 .LBB0_2
; %bb.3:                                ;   in Loop: Header=BB0_1 Depth=1
	s_add_co_i32 s9, s9, 1
	s_delay_alu instid0(SALU_CYCLE_1)
	s_cmp_eq_u32 s9, 0x400
	s_cbranch_scc0 .LBB0_1
; %bb.4:
	s_lshl_b32 s0, s8, 9
	s_delay_alu instid0(SALU_CYCLE_1) | instskip(NEXT) | instid1(SALU_CYCLE_1)
	s_and_b32 s0, s0, 0x3ffffe00
	v_add_nc_u32_e32 v0, s0, v0
	s_clause 0x7
	global_store_b32 v0, v18, s[6:7] scale_offset
	global_store_b32 v0, v5, s[6:7] offset:256 scale_offset
	global_store_b32 v0, v4, s[6:7] offset:512 scale_offset
	global_store_b32 v0, v3, s[6:7] offset:768 scale_offset
	global_store_b32 v0, v2, s[6:7] offset:1024 scale_offset
	global_store_b32 v0, v9, s[6:7] offset:1280 scale_offset
	global_store_b32 v0, v7, s[6:7] offset:1536 scale_offset
	global_store_b32 v0, v6, s[6:7] offset:1792 scale_offset
	s_endpgm
	.section	.rodata,"a",@progbits
	.p2align	6, 0x0
	.amdhsa_kernel _Z10ker_KeccakPKjPjS0_
		.amdhsa_group_segment_fixed_size 0
		.amdhsa_private_segment_fixed_size 0
		.amdhsa_kernarg_size 24
		.amdhsa_user_sgpr_count 2
		.amdhsa_user_sgpr_dispatch_ptr 0
		.amdhsa_user_sgpr_queue_ptr 0
		.amdhsa_user_sgpr_kernarg_segment_ptr 1
		.amdhsa_user_sgpr_dispatch_id 0
		.amdhsa_user_sgpr_kernarg_preload_length 0
		.amdhsa_user_sgpr_kernarg_preload_offset 0
		.amdhsa_user_sgpr_private_segment_size 0
		.amdhsa_wavefront_size32 1
		.amdhsa_uses_dynamic_stack 0
		.amdhsa_enable_private_segment 0
		.amdhsa_system_sgpr_workgroup_id_x 1
		.amdhsa_system_sgpr_workgroup_id_y 0
		.amdhsa_system_sgpr_workgroup_id_z 0
		.amdhsa_system_sgpr_workgroup_info 0
		.amdhsa_system_vgpr_workitem_id 0
		.amdhsa_next_free_vgpr 43
		.amdhsa_next_free_sgpr 12
		.amdhsa_named_barrier_count 0
		.amdhsa_reserve_vcc 0
		.amdhsa_float_round_mode_32 0
		.amdhsa_float_round_mode_16_64 0
		.amdhsa_float_denorm_mode_32 3
		.amdhsa_float_denorm_mode_16_64 3
		.amdhsa_fp16_overflow 0
		.amdhsa_memory_ordered 1
		.amdhsa_forward_progress 1
		.amdhsa_inst_pref_size 10
		.amdhsa_round_robin_scheduling 0
		.amdhsa_exception_fp_ieee_invalid_op 0
		.amdhsa_exception_fp_denorm_src 0
		.amdhsa_exception_fp_ieee_div_zero 0
		.amdhsa_exception_fp_ieee_overflow 0
		.amdhsa_exception_fp_ieee_underflow 0
		.amdhsa_exception_fp_ieee_inexact 0
		.amdhsa_exception_int_div_zero 0
	.end_amdhsa_kernel
	.text
.Lfunc_end0:
	.size	_Z10ker_KeccakPKjPjS0_, .Lfunc_end0-_Z10ker_KeccakPKjPjS0_
                                        ; -- End function
	.set _Z10ker_KeccakPKjPjS0_.num_vgpr, 43
	.set _Z10ker_KeccakPKjPjS0_.num_agpr, 0
	.set _Z10ker_KeccakPKjPjS0_.numbered_sgpr, 12
	.set _Z10ker_KeccakPKjPjS0_.num_named_barrier, 0
	.set _Z10ker_KeccakPKjPjS0_.private_seg_size, 0
	.set _Z10ker_KeccakPKjPjS0_.uses_vcc, 0
	.set _Z10ker_KeccakPKjPjS0_.uses_flat_scratch, 0
	.set _Z10ker_KeccakPKjPjS0_.has_dyn_sized_stack, 0
	.set _Z10ker_KeccakPKjPjS0_.has_recursion, 0
	.set _Z10ker_KeccakPKjPjS0_.has_indirect_call, 0
	.section	.AMDGPU.csdata,"",@progbits
; Kernel info:
; codeLenInByte = 1248
; TotalNumSgprs: 12
; NumVgprs: 43
; ScratchSize: 0
; MemoryBound: 0
; FloatMode: 240
; IeeeMode: 1
; LDSByteSize: 0 bytes/workgroup (compile time only)
; SGPRBlocks: 0
; VGPRBlocks: 2
; NumSGPRsForWavesPerEU: 12
; NumVGPRsForWavesPerEU: 43
; NamedBarCnt: 0
; Occupancy: 16
; WaveLimiterHint : 1
; COMPUTE_PGM_RSRC2:SCRATCH_EN: 0
; COMPUTE_PGM_RSRC2:USER_SGPR: 2
; COMPUTE_PGM_RSRC2:TRAP_HANDLER: 0
; COMPUTE_PGM_RSRC2:TGID_X_EN: 1
; COMPUTE_PGM_RSRC2:TGID_Y_EN: 0
; COMPUTE_PGM_RSRC2:TGID_Z_EN: 0
; COMPUTE_PGM_RSRC2:TIDIG_COMP_CNT: 0
	.text
	.p2alignl 7, 3214868480
	.fill 96, 4, 3214868480
	.section	.AMDGPU.gpr_maximums,"",@progbits
	.set amdgpu.max_num_vgpr, 0
	.set amdgpu.max_num_agpr, 0
	.set amdgpu.max_num_sgpr, 0
	.text
	.type	__hip_cuid_9f314b937d264a7e,@object ; @__hip_cuid_9f314b937d264a7e
	.section	.bss,"aw",@nobits
	.globl	__hip_cuid_9f314b937d264a7e
__hip_cuid_9f314b937d264a7e:
	.byte	0                               ; 0x0
	.size	__hip_cuid_9f314b937d264a7e, 1

	.ident	"AMD clang version 22.0.0git (https://github.com/RadeonOpenCompute/llvm-project roc-7.2.4 26084 f58b06dce1f9c15707c5f808fd002e18c2accf7e)"
	.section	".note.GNU-stack","",@progbits
	.addrsig
	.addrsig_sym __hip_cuid_9f314b937d264a7e
	.amdgpu_metadata
---
amdhsa.kernels:
  - .args:
      - .actual_access:  read_only
        .address_space:  global
        .offset:         0
        .size:           8
        .value_kind:     global_buffer
      - .actual_access:  write_only
        .address_space:  global
        .offset:         8
        .size:           8
        .value_kind:     global_buffer
      - .actual_access:  read_only
        .address_space:  global
        .offset:         16
        .size:           8
        .value_kind:     global_buffer
    .group_segment_fixed_size: 0
    .kernarg_segment_align: 8
    .kernarg_segment_size: 24
    .language:       OpenCL C
    .language_version:
      - 2
      - 0
    .max_flat_workgroup_size: 1024
    .name:           _Z10ker_KeccakPKjPjS0_
    .private_segment_fixed_size: 0
    .sgpr_count:     12
    .sgpr_spill_count: 0
    .symbol:         _Z10ker_KeccakPKjPjS0_.kd
    .uniform_work_group_size: 1
    .uses_dynamic_stack: false
    .vgpr_count:     43
    .vgpr_spill_count: 0
    .wavefront_size: 32
amdhsa.target:   amdgcn-amd-amdhsa--gfx1250
amdhsa.version:
  - 1
  - 2
...

	.end_amdgpu_metadata
